;; amdgpu-corpus repo=ROCm/rocFFT kind=compiled arch=gfx1201 opt=O3
	.text
	.amdgcn_target "amdgcn-amd-amdhsa--gfx1201"
	.amdhsa_code_object_version 6
	.protected	bluestein_single_fwd_len576_dim1_dp_op_CI_CI ; -- Begin function bluestein_single_fwd_len576_dim1_dp_op_CI_CI
	.globl	bluestein_single_fwd_len576_dim1_dp_op_CI_CI
	.p2align	8
	.type	bluestein_single_fwd_len576_dim1_dp_op_CI_CI,@function
bluestein_single_fwd_len576_dim1_dp_op_CI_CI: ; @bluestein_single_fwd_len576_dim1_dp_op_CI_CI
; %bb.0:
	s_load_b128 s[8:11], s[0:1], 0x28
	v_mul_u32_u24_e32 v1, 0x2ab, v0
	s_mov_b32 s2, exec_lo
	v_mov_b32_e32 v113, 0
	s_delay_alu instid0(VALU_DEP_2) | instskip(NEXT) | instid1(VALU_DEP_1)
	v_lshrrev_b32_e32 v1, 16, v1
	v_add_nc_u32_e32 v112, ttmp9, v1
	s_wait_kmcnt 0x0
	s_delay_alu instid0(VALU_DEP_1)
	v_cmpx_gt_u64_e64 s[8:9], v[112:113]
	s_cbranch_execz .LBB0_15
; %bb.1:
	s_clause 0x1
	s_load_b64 s[8:9], s[0:1], 0x0
	s_load_b64 s[12:13], s[0:1], 0x38
	v_mul_lo_u16 v1, 0x60, v1
	s_delay_alu instid0(VALU_DEP_1) | instskip(NEXT) | instid1(VALU_DEP_1)
	v_sub_nc_u16 v0, v0, v1
	v_and_b32_e32 v114, 0xffff, v0
	v_cmp_gt_u16_e32 vcc_lo, 36, v0
	s_delay_alu instid0(VALU_DEP_2)
	v_lshlrev_b32_e32 v113, 4, v114
	s_and_saveexec_b32 s3, vcc_lo
	s_cbranch_execz .LBB0_3
; %bb.2:
	s_load_b64 s[4:5], s[0:1], 0x18
	s_wait_kmcnt 0x0
	s_load_b128 s[4:7], s[4:5], 0x0
	s_wait_kmcnt 0x0
	v_mad_co_u64_u32 v[8:9], null, s6, v112, 0
	v_mad_co_u64_u32 v[24:25], null, s4, v114, 0
	s_delay_alu instid0(VALU_DEP_1) | instskip(NEXT) | instid1(VALU_DEP_1)
	v_dual_mov_b32 v0, v9 :: v_dual_mov_b32 v1, v25
	v_mad_co_u64_u32 v[2:3], null, s7, v112, v[0:1]
	s_delay_alu instid0(VALU_DEP_1)
	v_mad_co_u64_u32 v[10:11], null, s5, v114, v[1:2]
	v_mov_b32_e32 v9, v2
	s_mul_u64 s[4:5], s[4:5], 0x240
	s_clause 0x1
	global_load_b128 v[0:3], v113, s[8:9]
	global_load_b128 v[4:7], v113, s[8:9] offset:576
	v_lshlrev_b64_e32 v[26:27], 4, v[8:9]
	v_mov_b32_e32 v25, v10
	s_clause 0x3
	global_load_b128 v[8:11], v113, s[8:9] offset:1152
	global_load_b128 v[12:15], v113, s[8:9] offset:1728
	;; [unrolled: 1-line block ×4, first 2 shown]
	v_add_co_u32 v34, s2, s10, v26
	v_lshlrev_b64_e32 v[32:33], 4, v[24:25]
	v_add_co_ci_u32_e64 v35, s2, s11, v27, s2
	s_clause 0x1
	global_load_b128 v[24:27], v113, s[8:9] offset:3456
	global_load_b128 v[28:31], v113, s[8:9] offset:4032
	v_add_co_u32 v56, s2, v34, v32
	s_wait_alu 0xf1ff
	v_add_co_ci_u32_e64 v57, s2, v35, v33, s2
	s_clause 0x1
	global_load_b128 v[32:35], v113, s[8:9] offset:4608
	global_load_b128 v[36:39], v113, s[8:9] offset:5184
	s_wait_alu 0xfffe
	v_add_co_u32 v60, s2, v56, s4
	s_wait_alu 0xf1ff
	v_add_co_ci_u32_e64 v61, s2, s5, v57, s2
	s_clause 0x1
	global_load_b128 v[40:43], v113, s[8:9] offset:5760
	global_load_b128 v[44:47], v113, s[8:9] offset:6336
	v_add_co_u32 v64, s2, v60, s4
	s_wait_alu 0xf1ff
	v_add_co_ci_u32_e64 v65, s2, s5, v61, s2
	s_clause 0x1
	global_load_b128 v[48:51], v113, s[8:9] offset:6912
	global_load_b128 v[52:55], v113, s[8:9] offset:7488
	v_add_co_u32 v68, s2, v64, s4
	s_wait_alu 0xf1ff
	v_add_co_ci_u32_e64 v69, s2, s5, v65, s2
	s_clause 0x1
	global_load_b128 v[56:59], v[56:57], off
	global_load_b128 v[60:63], v[60:61], off
	v_add_co_u32 v72, s2, v68, s4
	s_wait_alu 0xf1ff
	v_add_co_ci_u32_e64 v73, s2, s5, v69, s2
	s_clause 0x1
	global_load_b128 v[64:67], v[64:65], off
	global_load_b128 v[68:71], v[68:69], off
	v_add_co_u32 v76, s2, v72, s4
	s_wait_alu 0xf1ff
	v_add_co_ci_u32_e64 v77, s2, s5, v73, s2
	global_load_b128 v[72:75], v[72:73], off
	v_add_co_u32 v80, s2, v76, s4
	s_wait_alu 0xf1ff
	v_add_co_ci_u32_e64 v81, s2, s5, v77, s2
	;; [unrolled: 4-line block ×10, first 2 shown]
	s_delay_alu instid0(VALU_DEP_2) | instskip(SKIP_1) | instid1(VALU_DEP_2)
	v_add_co_u32 v127, s2, v115, s4
	s_wait_alu 0xf1ff
	v_add_co_ci_u32_e64 v128, s2, s5, v116, s2
	global_load_b128 v[108:111], v[108:109], off
	global_load_b128 v[115:118], v[115:116], off
	s_clause 0x1
	global_load_b128 v[119:122], v113, s[8:9] offset:8064
	global_load_b128 v[123:126], v113, s[8:9] offset:8640
	global_load_b128 v[127:130], v[127:128], off
	s_wait_loadcnt 0x11
	v_mul_f64_e32 v[131:132], v[58:59], v[2:3]
	v_mul_f64_e32 v[2:3], v[56:57], v[2:3]
	s_wait_loadcnt 0x10
	v_mul_f64_e32 v[133:134], v[62:63], v[6:7]
	v_mul_f64_e32 v[6:7], v[60:61], v[6:7]
	;; [unrolled: 3-line block ×16, first 2 shown]
	v_fma_f64 v[54:55], v[56:57], v[0:1], v[131:132]
	v_fma_f64 v[56:57], v[58:59], v[0:1], -v[2:3]
	v_fma_f64 v[0:1], v[60:61], v[4:5], v[133:134]
	v_fma_f64 v[2:3], v[62:63], v[4:5], -v[6:7]
	;; [unrolled: 2-line block ×16, first 2 shown]
	ds_store_b128 v113, v[54:57]
	ds_store_b128 v113, v[0:3] offset:576
	ds_store_b128 v113, v[4:7] offset:1152
	;; [unrolled: 1-line block ×15, first 2 shown]
.LBB0_3:
	s_or_b32 exec_lo, exec_lo, s3
	s_load_b64 s[2:3], s[0:1], 0x20
	global_wb scope:SCOPE_SE
	s_wait_dscnt 0x0
	s_wait_kmcnt 0x0
	s_barrier_signal -1
	s_barrier_wait -1
	global_inv scope:SCOPE_SE
                                        ; implicit-def: $vgpr0_vgpr1
                                        ; implicit-def: $vgpr16_vgpr17
                                        ; implicit-def: $vgpr32_vgpr33
                                        ; implicit-def: $vgpr56_vgpr57
                                        ; implicit-def: $vgpr60_vgpr61
                                        ; implicit-def: $vgpr48_vgpr49
                                        ; implicit-def: $vgpr52_vgpr53
                                        ; implicit-def: $vgpr40_vgpr41
                                        ; implicit-def: $vgpr44_vgpr45
                                        ; implicit-def: $vgpr36_vgpr37
                                        ; implicit-def: $vgpr28_vgpr29
                                        ; implicit-def: $vgpr24_vgpr25
                                        ; implicit-def: $vgpr20_vgpr21
                                        ; implicit-def: $vgpr12_vgpr13
                                        ; implicit-def: $vgpr8_vgpr9
                                        ; implicit-def: $vgpr4_vgpr5
	s_and_saveexec_b32 s4, vcc_lo
	s_cbranch_execz .LBB0_5
; %bb.4:
	ds_load_b128 v[0:3], v113
	ds_load_b128 v[4:7], v113 offset:576
	ds_load_b128 v[8:11], v113 offset:1152
	;; [unrolled: 1-line block ×15, first 2 shown]
.LBB0_5:
	s_wait_alu 0xfffe
	s_or_b32 exec_lo, exec_lo, s4
	s_wait_dscnt 0x7
	v_add_f64_e64 v[36:37], v[0:1], -v[36:37]
	v_add_f64_e64 v[38:39], v[2:3], -v[38:39]
	s_wait_dscnt 0x3
	v_add_f64_e64 v[52:53], v[20:21], -v[52:53]
	v_add_f64_e64 v[54:55], v[22:23], -v[54:55]
	;; [unrolled: 1-line block ×4, first 2 shown]
	s_wait_dscnt 0x1
	v_add_f64_e64 v[60:61], v[16:17], -v[60:61]
	v_add_f64_e64 v[62:63], v[18:19], -v[62:63]
	v_add_f64_e64 v[32:33], v[4:5], -v[32:33]
	v_add_f64_e64 v[34:35], v[6:7], -v[34:35]
	v_add_f64_e64 v[48:49], v[24:25], -v[48:49]
	v_add_f64_e64 v[50:51], v[26:27], -v[50:51]
	v_add_f64_e64 v[40:41], v[12:13], -v[40:41]
	v_add_f64_e64 v[42:43], v[14:15], -v[42:43]
	s_wait_dscnt 0x0
	v_add_f64_e64 v[58:59], v[30:31], -v[58:59]
	v_add_f64_e64 v[56:57], v[28:29], -v[56:57]
	s_mov_b32 s4, 0x667f3bcd
	s_mov_b32 s5, 0xbfe6a09e
	;; [unrolled: 1-line block ×3, first 2 shown]
	s_wait_alu 0xfffe
	s_mov_b32 s6, s4
	s_mov_b32 s10, 0xcf328d46
	;; [unrolled: 1-line block ×4, first 2 shown]
	s_wait_alu 0xfffe
	s_mov_b32 s14, s10
	s_mov_b32 s16, 0xa6aea964
	;; [unrolled: 1-line block ×5, first 2 shown]
	v_lshlrev_b16 v115, 4, v114
	global_wb scope:SCOPE_SE
	s_barrier_signal -1
	s_barrier_wait -1
	global_inv scope:SCOPE_SE
	v_fma_f64 v[0:1], v[0:1], 2.0, -v[36:37]
	v_fma_f64 v[2:3], v[2:3], 2.0, -v[38:39]
	v_add_f64_e32 v[66:67], v[38:39], v[52:53]
	v_add_f64_e64 v[64:65], v[36:37], -v[54:55]
	v_fma_f64 v[20:21], v[20:21], 2.0, -v[52:53]
	v_fma_f64 v[22:23], v[22:23], 2.0, -v[54:55]
	v_add_f64_e32 v[70:71], v[60:61], v[46:47]
	v_add_f64_e64 v[68:69], v[44:45], -v[62:63]
	v_fma_f64 v[8:9], v[8:9], 2.0, -v[44:45]
	v_fma_f64 v[10:11], v[10:11], 2.0, -v[46:47]
	v_add_f64_e32 v[74:75], v[48:49], v[34:35]
	v_add_f64_e64 v[72:73], v[32:33], -v[50:51]
	v_fma_f64 v[16:17], v[16:17], 2.0, -v[60:61]
	v_fma_f64 v[18:19], v[18:19], 2.0, -v[62:63]
	v_add_f64_e64 v[76:77], v[40:41], -v[58:59]
	v_add_f64_e32 v[78:79], v[56:57], v[42:43]
	v_fma_f64 v[4:5], v[4:5], 2.0, -v[32:33]
	v_fma_f64 v[6:7], v[6:7], 2.0, -v[34:35]
	;; [unrolled: 1-line block ×10, first 2 shown]
	v_add_f64_e64 v[20:21], v[0:1], -v[20:21]
	v_add_f64_e64 v[48:49], v[2:3], -v[22:23]
	v_fma_f64 v[46:47], v[46:47], 2.0, -v[70:71]
	v_fma_f64 v[44:45], v[44:45], 2.0, -v[68:69]
	v_fma_f64 v[22:23], v[68:69], s[6:7], v[64:65]
	v_fma_f64 v[50:51], v[70:71], s[6:7], v[66:67]
	v_fma_f64 v[34:35], v[34:35], 2.0, -v[74:75]
	v_fma_f64 v[32:33], v[32:33], 2.0, -v[72:73]
	v_add_f64_e64 v[16:17], v[8:9], -v[16:17]
	v_add_f64_e64 v[18:19], v[10:11], -v[18:19]
	v_fma_f64 v[40:41], v[40:41], 2.0, -v[76:77]
	v_fma_f64 v[42:43], v[42:43], 2.0, -v[78:79]
	v_fma_f64 v[52:53], v[76:77], s[6:7], v[72:73]
	v_fma_f64 v[54:55], v[78:79], s[6:7], v[74:75]
	v_add_f64_e64 v[24:25], v[4:5], -v[24:25]
	v_add_f64_e64 v[26:27], v[6:7], -v[26:27]
	;; [unrolled: 1-line block ×4, first 2 shown]
	v_fma_f64 v[80:81], v[0:1], 2.0, -v[20:21]
	v_fma_f64 v[82:83], v[2:3], 2.0, -v[48:49]
	v_fma_f64 v[58:59], v[46:47], s[4:5], v[38:39]
	v_fma_f64 v[56:57], v[44:45], s[4:5], v[36:37]
	;; [unrolled: 1-line block ×4, first 2 shown]
	v_fma_f64 v[2:3], v[8:9], 2.0, -v[16:17]
	v_fma_f64 v[10:11], v[10:11], 2.0, -v[18:19]
	v_fma_f64 v[60:61], v[40:41], s[4:5], v[32:33]
	v_fma_f64 v[62:63], v[42:43], s[4:5], v[34:35]
	v_add_f64_e64 v[88:89], v[20:21], -v[18:19]
	v_add_f64_e32 v[90:91], v[48:49], v[16:17]
	v_fma_f64 v[84:85], v[4:5], 2.0, -v[24:25]
	v_fma_f64 v[86:87], v[6:7], 2.0, -v[26:27]
	v_fma_f64 v[50:51], v[78:79], s[4:5], v[52:53]
	v_fma_f64 v[52:53], v[76:77], s[6:7], v[54:55]
	v_fma_f64 v[18:19], v[12:13], 2.0, -v[28:29]
	v_fma_f64 v[14:15], v[14:15], 2.0, -v[30:31]
	v_add_f64_e64 v[30:31], v[24:25], -v[30:31]
	v_add_f64_e32 v[28:29], v[28:29], v[26:27]
	v_fma_f64 v[8:9], v[44:45], s[6:7], v[58:59]
	v_fma_f64 v[0:1], v[46:47], s[4:5], v[56:57]
	v_fma_f64 v[6:7], v[64:65], 2.0, -v[92:93]
	v_fma_f64 v[16:17], v[66:67], 2.0, -v[94:95]
	v_add_f64_e64 v[2:3], v[80:81], -v[2:3]
	v_add_f64_e64 v[22:23], v[82:83], -v[10:11]
	v_fma_f64 v[42:43], v[42:43], s[4:5], v[60:61]
	v_fma_f64 v[40:41], v[40:41], s[6:7], v[62:63]
	v_fma_f64 v[4:5], v[20:21], 2.0, -v[88:89]
	v_fma_f64 v[12:13], v[48:49], 2.0, -v[90:91]
	v_fma_f64 v[54:55], v[72:73], 2.0, -v[50:51]
	v_fma_f64 v[60:61], v[74:75], 2.0, -v[52:53]
	v_add_f64_e64 v[44:45], v[84:85], -v[18:19]
	v_add_f64_e64 v[46:47], v[86:87], -v[14:15]
	v_fma_f64 v[24:25], v[24:25], 2.0, -v[30:31]
	v_fma_f64 v[26:27], v[26:27], 2.0, -v[28:29]
	v_fma_f64 v[48:49], v[30:31], s[6:7], v[88:89]
	v_fma_f64 v[56:57], v[28:29], s[6:7], v[90:91]
	;; [unrolled: 1-line block ×3, first 2 shown]
	v_fma_f64 v[20:21], v[38:39], 2.0, -v[8:9]
	v_fma_f64 v[10:11], v[36:37], 2.0, -v[0:1]
	v_fma_f64 v[36:37], v[52:53], s[14:15], v[94:95]
	v_fma_f64 v[14:15], v[80:81], 2.0, -v[2:3]
	v_fma_f64 v[18:19], v[82:83], 2.0, -v[22:23]
	;; [unrolled: 1-line block ×4, first 2 shown]
	v_fma_f64 v[80:81], v[42:43], s[18:19], v[0:1]
	v_fma_f64 v[82:83], v[40:41], s[18:19], v[8:9]
	;; [unrolled: 1-line block ×4, first 2 shown]
	v_fma_f64 v[38:39], v[84:85], 2.0, -v[44:45]
	v_fma_f64 v[62:63], v[86:87], 2.0, -v[46:47]
	v_fma_f64 v[64:65], v[24:25], s[4:5], v[4:5]
	v_fma_f64 v[66:67], v[26:27], s[4:5], v[12:13]
	;; [unrolled: 1-line block ×5, first 2 shown]
	v_add_f64_e64 v[56:57], v[2:3], -v[46:47]
	v_add_f64_e32 v[58:59], v[22:23], v[44:45]
	v_fma_f64 v[74:75], v[50:51], s[18:19], v[36:37]
	v_fma_f64 v[28:29], v[32:33], s[10:11], v[10:11]
	;; [unrolled: 1-line block ×5, first 2 shown]
	v_add_f64_e64 v[48:49], v[14:15], -v[38:39]
	v_add_f64_e64 v[50:51], v[18:19], -v[62:63]
	v_fma_f64 v[64:65], v[26:27], s[4:5], v[64:65]
	v_fma_f64 v[66:67], v[24:25], s[6:7], v[66:67]
	;; [unrolled: 1-line block ×4, first 2 shown]
	v_fma_f64 v[40:41], v[88:89], 2.0, -v[76:77]
	v_fma_f64 v[42:43], v[90:91], 2.0, -v[78:79]
	;; [unrolled: 1-line block ×3, first 2 shown]
	s_load_b64 s[4:5], s[0:1], 0x8
	v_fma_f64 v[46:47], v[94:95], 2.0, -v[74:75]
	v_fma_f64 v[52:53], v[34:35], s[16:17], v[28:29]
	v_fma_f64 v[54:55], v[32:33], s[18:19], v[30:31]
	s_and_saveexec_b32 s0, vcc_lo
	s_cbranch_execz .LBB0_7
; %bb.6:
	v_fma_f64 v[30:31], v[18:19], 2.0, -v[50:51]
	v_fma_f64 v[28:29], v[14:15], 2.0, -v[48:49]
	s_delay_alu instid0(VALU_DEP_3)
	v_fma_f64 v[26:27], v[20:21], 2.0, -v[54:55]
	v_fma_f64 v[24:25], v[10:11], 2.0, -v[52:53]
	;; [unrolled: 1-line block ×10, first 2 shown]
	v_and_b32_e32 v0, 0xffff, v115
	s_delay_alu instid0(VALU_DEP_1)
	v_lshlrev_b32_e32 v0, 4, v0
	ds_store_b128 v0, v[40:43] offset:96
	ds_store_b128 v0, v[44:47] offset:112
	;; [unrolled: 1-line block ×8, first 2 shown]
	ds_store_b128 v0, v[28:31]
	ds_store_b128 v0, v[24:27] offset:16
	ds_store_b128 v0, v[10:13] offset:32
	;; [unrolled: 1-line block ×7, first 2 shown]
.LBB0_7:
	s_wait_alu 0xfffe
	s_or_b32 exec_lo, exec_lo, s0
	v_and_b32_e32 v100, 15, v114
	s_load_b128 s[0:3], s[2:3], 0x0
	global_wb scope:SCOPE_SE
	s_wait_dscnt 0x0
	s_wait_kmcnt 0x0
	s_barrier_signal -1
	s_barrier_wait -1
	v_mad_co_u64_u32 v[8:9], null, 0x50, v100, s[4:5]
	global_inv scope:SCOPE_SE
	s_mov_b32 s10, 0xe8584caa
	s_mov_b32 s11, 0x3febb67a
	;; [unrolled: 1-line block ×3, first 2 shown]
	s_wait_alu 0xfffe
	s_mov_b32 s6, s10
	s_clause 0x4
	global_load_b128 v[0:3], v[8:9], off offset:32
	global_load_b128 v[16:19], v[8:9], off offset:64
	global_load_b128 v[4:7], v[8:9], off
	global_load_b128 v[12:15], v[8:9], off offset:16
	global_load_b128 v[8:11], v[8:9], off offset:48
	ds_load_b128 v[20:23], v113 offset:4608
	ds_load_b128 v[24:27], v113 offset:7680
	;; [unrolled: 1-line block ×3, first 2 shown]
	s_wait_loadcnt_dscnt 0x402
	v_mul_f64_e32 v[32:33], v[22:23], v[2:3]
	v_mul_f64_e32 v[34:35], v[20:21], v[2:3]
	s_wait_loadcnt_dscnt 0x301
	v_mul_f64_e32 v[36:37], v[24:25], v[18:19]
	v_mul_f64_e32 v[38:39], v[26:27], v[18:19]
	;; [unrolled: 3-line block ×3, first 2 shown]
	v_fma_f64 v[32:33], v[20:21], v[0:1], -v[32:33]
	v_fma_f64 v[34:35], v[22:23], v[0:1], v[34:35]
	v_fma_f64 v[36:37], v[26:27], v[16:17], v[36:37]
	v_fma_f64 v[38:39], v[24:25], v[16:17], -v[38:39]
	ds_load_b128 v[20:23], v113 offset:3072
	ds_load_b128 v[24:27], v113 offset:6144
	v_fma_f64 v[28:29], v[28:29], v[4:5], -v[80:81]
	v_fma_f64 v[30:31], v[30:31], v[4:5], v[82:83]
	s_wait_loadcnt_dscnt 0x101
	v_mul_f64_e32 v[84:85], v[22:23], v[14:15]
	v_mul_f64_e32 v[86:87], v[20:21], v[14:15]
	s_wait_loadcnt_dscnt 0x0
	v_mul_f64_e32 v[88:89], v[26:27], v[10:11]
	v_mul_f64_e32 v[90:91], v[24:25], v[10:11]
	v_add_f64_e32 v[80:81], v[34:35], v[36:37]
	v_add_f64_e32 v[82:83], v[32:33], v[38:39]
	v_fma_f64 v[84:85], v[20:21], v[12:13], -v[84:85]
	v_fma_f64 v[86:87], v[22:23], v[12:13], v[86:87]
	v_fma_f64 v[24:25], v[24:25], v[8:9], -v[88:89]
	v_fma_f64 v[26:27], v[26:27], v[8:9], v[90:91]
	v_add_f64_e64 v[20:21], v[34:35], -v[36:37]
	v_add_f64_e64 v[22:23], v[32:33], -v[38:39]
	v_fma_f64 v[80:81], v[80:81], -0.5, v[30:31]
	v_fma_f64 v[82:83], v[82:83], -0.5, v[28:29]
	v_add_f64_e32 v[28:29], v[28:29], v[32:33]
	v_add_f64_e32 v[30:31], v[30:31], v[34:35]
	;; [unrolled: 1-line block ×4, first 2 shown]
	v_add_f64_e64 v[98:99], v[86:87], -v[26:27]
	v_add_f64_e64 v[32:33], v[84:85], -v[24:25]
	s_wait_alu 0xfffe
	v_fma_f64 v[92:93], v[22:23], s[6:7], v[80:81]
	v_fma_f64 v[94:95], v[20:21], s[6:7], v[82:83]
	;; [unrolled: 1-line block ×4, first 2 shown]
	ds_load_b128 v[20:23], v113
	v_add_f64_e32 v[28:29], v[28:29], v[38:39]
	v_add_f64_e32 v[30:31], v[30:31], v[36:37]
	global_wb scope:SCOPE_SE
	s_wait_dscnt 0x0
	s_barrier_signal -1
	s_barrier_wait -1
	global_inv scope:SCOPE_SE
	v_add_f64_e32 v[96:97], v[20:21], v[84:85]
	v_add_f64_e32 v[86:87], v[22:23], v[86:87]
	v_fma_f64 v[20:21], v[88:89], -0.5, v[20:21]
	v_fma_f64 v[22:23], v[90:91], -0.5, v[22:23]
	v_mul_f64_e32 v[34:35], s[10:11], v[92:93]
	v_mul_f64_e32 v[84:85], -0.5, v[94:95]
	v_mul_f64_e32 v[88:89], s[6:7], v[82:83]
	v_mul_f64_e32 v[90:91], -0.5, v[80:81]
	v_add_f64_e32 v[24:25], v[96:97], v[24:25]
	v_add_f64_e32 v[26:27], v[86:87], v[26:27]
	v_fma_f64 v[36:37], v[98:99], s[10:11], v[20:21]
	v_fma_f64 v[86:87], v[32:33], s[6:7], v[22:23]
	;; [unrolled: 1-line block ×4, first 2 shown]
	v_fma_f64 v[82:83], v[82:83], 0.5, v[34:35]
	v_fma_f64 v[80:81], v[80:81], s[10:11], v[84:85]
	v_fma_f64 v[84:85], v[92:93], 0.5, v[88:89]
	v_fma_f64 v[88:89], v[94:95], s[6:7], v[90:91]
	v_add_f64_e32 v[20:21], v[24:25], v[28:29]
	v_add_f64_e32 v[22:23], v[26:27], v[30:31]
	v_add_f64_e64 v[24:25], v[24:25], -v[28:29]
	v_add_f64_e64 v[26:27], v[26:27], -v[30:31]
	v_add_f64_e32 v[28:29], v[36:37], v[82:83]
	v_add_f64_e32 v[32:33], v[38:39], v[80:81]
	;; [unrolled: 1-line block ×4, first 2 shown]
	v_add_f64_e64 v[36:37], v[36:37], -v[82:83]
	v_add_f64_e64 v[80:81], v[38:39], -v[80:81]
	;; [unrolled: 1-line block ×4, first 2 shown]
	v_lshrrev_b32_e32 v84, 4, v114
	s_delay_alu instid0(VALU_DEP_1) | instskip(NEXT) | instid1(VALU_DEP_1)
	v_mul_u32_u24_e32 v84, 0x60, v84
	v_or_b32_e32 v86, v84, v100
	v_mad_co_u64_u32 v[84:85], null, 0x50, v114, s[4:5]
	s_delay_alu instid0(VALU_DEP_2)
	v_lshlrev_b32_e32 v116, 4, v86
	ds_store_b128 v116, v[20:23]
	ds_store_b128 v116, v[28:31] offset:256
	ds_store_b128 v116, v[32:35] offset:512
	;; [unrolled: 1-line block ×5, first 2 shown]
	global_wb scope:SCOPE_SE
	s_wait_dscnt 0x0
	s_barrier_signal -1
	s_barrier_wait -1
	global_inv scope:SCOPE_SE
	s_clause 0x4
	global_load_b128 v[20:23], v[84:85], off offset:1312
	global_load_b128 v[36:39], v[84:85], off offset:1344
	;; [unrolled: 1-line block ×5, first 2 shown]
	ds_load_b128 v[80:83], v113 offset:4608
	ds_load_b128 v[84:87], v113 offset:7680
	;; [unrolled: 1-line block ×3, first 2 shown]
	s_wait_loadcnt_dscnt 0x402
	v_mul_f64_e32 v[92:93], v[82:83], v[22:23]
	v_mul_f64_e32 v[94:95], v[80:81], v[22:23]
	s_wait_loadcnt_dscnt 0x301
	v_mul_f64_e32 v[96:97], v[84:85], v[38:39]
	v_mul_f64_e32 v[98:99], v[86:87], v[38:39]
	;; [unrolled: 3-line block ×3, first 2 shown]
	v_fma_f64 v[92:93], v[80:81], v[20:21], -v[92:93]
	v_fma_f64 v[94:95], v[82:83], v[20:21], v[94:95]
	v_fma_f64 v[96:97], v[86:87], v[36:37], v[96:97]
	v_fma_f64 v[98:99], v[84:85], v[36:37], -v[98:99]
	ds_load_b128 v[80:83], v113 offset:3072
	ds_load_b128 v[84:87], v113 offset:6144
	v_fma_f64 v[88:89], v[88:89], v[24:25], -v[100:101]
	v_fma_f64 v[90:91], v[90:91], v[24:25], v[102:103]
	s_wait_loadcnt_dscnt 0x101
	v_mul_f64_e32 v[104:105], v[82:83], v[34:35]
	v_mul_f64_e32 v[106:107], v[80:81], v[34:35]
	s_wait_loadcnt_dscnt 0x0
	v_mul_f64_e32 v[108:109], v[86:87], v[30:31]
	v_mul_f64_e32 v[110:111], v[84:85], v[30:31]
	v_add_f64_e32 v[100:101], v[94:95], v[96:97]
	v_add_f64_e32 v[102:103], v[92:93], v[98:99]
	v_fma_f64 v[104:105], v[80:81], v[32:33], -v[104:105]
	v_fma_f64 v[106:107], v[82:83], v[32:33], v[106:107]
	v_fma_f64 v[84:85], v[84:85], v[28:29], -v[108:109]
	v_fma_f64 v[86:87], v[86:87], v[28:29], v[110:111]
	v_add_f64_e64 v[80:81], v[94:95], -v[96:97]
	v_add_f64_e64 v[82:83], v[92:93], -v[98:99]
	v_fma_f64 v[100:101], v[100:101], -0.5, v[90:91]
	v_fma_f64 v[102:103], v[102:103], -0.5, v[88:89]
	v_add_f64_e32 v[88:89], v[88:89], v[92:93]
	v_add_f64_e32 v[90:91], v[90:91], v[94:95]
	;; [unrolled: 1-line block ×4, first 2 shown]
	v_add_f64_e64 v[123:124], v[106:107], -v[86:87]
	v_add_f64_e64 v[92:93], v[104:105], -v[84:85]
	v_fma_f64 v[117:118], v[82:83], s[6:7], v[100:101]
	v_fma_f64 v[119:120], v[80:81], s[6:7], v[102:103]
	v_fma_f64 v[102:103], v[80:81], s[10:11], v[102:103]
	v_fma_f64 v[100:101], v[82:83], s[10:11], v[100:101]
	ds_load_b128 v[80:83], v113
	v_add_f64_e32 v[88:89], v[88:89], v[98:99]
	v_add_f64_e32 v[90:91], v[90:91], v[96:97]
	s_wait_dscnt 0x0
	v_add_f64_e32 v[121:122], v[80:81], v[104:105]
	v_add_f64_e32 v[106:107], v[82:83], v[106:107]
	v_fma_f64 v[80:81], v[108:109], -0.5, v[80:81]
	v_fma_f64 v[82:83], v[110:111], -0.5, v[82:83]
	v_mul_f64_e32 v[94:95], s[10:11], v[117:118]
	v_mul_f64_e32 v[104:105], -0.5, v[119:120]
	v_mul_f64_e32 v[108:109], s[6:7], v[102:103]
	v_mul_f64_e32 v[110:111], -0.5, v[100:101]
	v_add_f64_e32 v[84:85], v[121:122], v[84:85]
	v_add_f64_e32 v[86:87], v[106:107], v[86:87]
	v_fma_f64 v[96:97], v[123:124], s[10:11], v[80:81]
	v_fma_f64 v[98:99], v[123:124], s[6:7], v[80:81]
	;; [unrolled: 1-line block ×4, first 2 shown]
	v_fma_f64 v[102:103], v[102:103], 0.5, v[94:95]
	v_fma_f64 v[100:101], v[100:101], s[10:11], v[104:105]
	v_fma_f64 v[104:105], v[117:118], 0.5, v[108:109]
	v_fma_f64 v[108:109], v[119:120], s[6:7], v[110:111]
	v_add_f64_e32 v[80:81], v[84:85], v[88:89]
	v_add_f64_e32 v[82:83], v[86:87], v[90:91]
	v_add_f64_e64 v[88:89], v[84:85], -v[88:89]
	v_add_f64_e64 v[90:91], v[86:87], -v[90:91]
	v_add_f64_e32 v[84:85], v[96:97], v[102:103]
	v_add_f64_e32 v[92:93], v[98:99], v[100:101]
	;; [unrolled: 1-line block ×4, first 2 shown]
	v_add_f64_e64 v[96:97], v[96:97], -v[102:103]
	v_add_f64_e64 v[100:101], v[98:99], -v[100:101]
	;; [unrolled: 1-line block ×4, first 2 shown]
	ds_store_b128 v113, v[80:83]
	ds_store_b128 v113, v[84:87] offset:1536
	ds_store_b128 v113, v[92:95] offset:3072
	;; [unrolled: 1-line block ×5, first 2 shown]
	global_wb scope:SCOPE_SE
	s_wait_dscnt 0x0
	s_barrier_signal -1
	s_barrier_wait -1
	global_inv scope:SCOPE_SE
	s_and_saveexec_b32 s6, vcc_lo
	s_cbranch_execz .LBB0_9
; %bb.8:
	global_load_b128 v[104:107], v113, s[8:9] offset:9216
	s_add_nc_u64 s[4:5], s[8:9], 0x2400
	s_clause 0x3
	global_load_b128 v[108:111], v113, s[4:5] offset:576
	global_load_b128 v[117:120], v113, s[4:5] offset:1152
	;; [unrolled: 1-line block ×4, first 2 shown]
	ds_load_b128 v[129:132], v113
	ds_load_b128 v[133:136], v113 offset:576
	ds_load_b128 v[137:140], v113 offset:1152
	s_wait_loadcnt_dscnt 0x301
	v_mul_f64_e32 v[145:146], v[135:136], v[110:111]
	v_mul_f64_e32 v[141:142], v[131:132], v[106:107]
	v_mul_f64_e32 v[106:107], v[129:130], v[106:107]
	v_mul_f64_e32 v[110:111], v[133:134], v[110:111]
	s_delay_alu instid0(VALU_DEP_4) | instskip(NEXT) | instid1(VALU_DEP_4)
	v_fma_f64 v[133:134], v[133:134], v[108:109], -v[145:146]
	v_fma_f64 v[129:130], v[129:130], v[104:105], -v[141:142]
	s_delay_alu instid0(VALU_DEP_4)
	v_fma_f64 v[131:132], v[131:132], v[104:105], v[106:107]
	ds_load_b128 v[104:107], v113 offset:1728
	global_load_b128 v[141:144], v113, s[4:5] offset:2880
	v_fma_f64 v[135:136], v[135:136], v[108:109], v[110:111]
	s_wait_loadcnt_dscnt 0x301
	v_mul_f64_e32 v[108:109], v[139:140], v[119:120]
	v_mul_f64_e32 v[110:111], v[137:138], v[119:120]
	s_wait_loadcnt_dscnt 0x200
	v_mul_f64_e32 v[145:146], v[106:107], v[123:124]
	v_mul_f64_e32 v[123:124], v[104:105], v[123:124]
	s_delay_alu instid0(VALU_DEP_4) | instskip(NEXT) | instid1(VALU_DEP_4)
	v_fma_f64 v[108:109], v[137:138], v[117:118], -v[108:109]
	v_fma_f64 v[110:111], v[139:140], v[117:118], v[110:111]
	ds_load_b128 v[117:120], v113 offset:2304
	ds_load_b128 v[137:140], v113 offset:2880
	v_fma_f64 v[104:105], v[104:105], v[121:122], -v[145:146]
	v_fma_f64 v[106:107], v[106:107], v[121:122], v[123:124]
	global_load_b128 v[121:124], v113, s[4:5] offset:3456
	s_wait_loadcnt_dscnt 0x201
	v_mul_f64_e32 v[145:146], v[119:120], v[127:128]
	v_mul_f64_e32 v[127:128], v[117:118], v[127:128]
	s_delay_alu instid0(VALU_DEP_2) | instskip(NEXT) | instid1(VALU_DEP_2)
	v_fma_f64 v[117:118], v[117:118], v[125:126], -v[145:146]
	v_fma_f64 v[119:120], v[119:120], v[125:126], v[127:128]
	global_load_b128 v[125:128], v113, s[4:5] offset:4032
	s_wait_loadcnt_dscnt 0x200
	v_mul_f64_e32 v[145:146], v[139:140], v[143:144]
	v_mul_f64_e32 v[143:144], v[137:138], v[143:144]
	s_delay_alu instid0(VALU_DEP_2) | instskip(NEXT) | instid1(VALU_DEP_2)
	v_fma_f64 v[137:138], v[137:138], v[141:142], -v[145:146]
	v_fma_f64 v[139:140], v[139:140], v[141:142], v[143:144]
	ds_load_b128 v[141:144], v113 offset:3456
	ds_load_b128 v[145:148], v113 offset:4032
	s_wait_loadcnt_dscnt 0x101
	v_mul_f64_e32 v[149:150], v[143:144], v[123:124]
	v_mul_f64_e32 v[123:124], v[141:142], v[123:124]
	s_delay_alu instid0(VALU_DEP_2) | instskip(NEXT) | instid1(VALU_DEP_2)
	v_fma_f64 v[141:142], v[141:142], v[121:122], -v[149:150]
	v_fma_f64 v[143:144], v[143:144], v[121:122], v[123:124]
	s_wait_loadcnt_dscnt 0x0
	v_mul_f64_e32 v[121:122], v[147:148], v[127:128]
	v_mul_f64_e32 v[123:124], v[145:146], v[127:128]
	s_delay_alu instid0(VALU_DEP_2) | instskip(NEXT) | instid1(VALU_DEP_2)
	v_fma_f64 v[121:122], v[145:146], v[125:126], -v[121:122]
	v_fma_f64 v[123:124], v[147:148], v[125:126], v[123:124]
	s_clause 0x1
	global_load_b128 v[125:128], v113, s[4:5] offset:4608
	global_load_b128 v[145:148], v113, s[4:5] offset:5184
	ds_load_b128 v[149:152], v113 offset:4608
	ds_load_b128 v[153:156], v113 offset:5184
	s_wait_loadcnt_dscnt 0x101
	v_mul_f64_e32 v[157:158], v[151:152], v[127:128]
	v_mul_f64_e32 v[127:128], v[149:150], v[127:128]
	s_delay_alu instid0(VALU_DEP_2) | instskip(NEXT) | instid1(VALU_DEP_2)
	v_fma_f64 v[149:150], v[149:150], v[125:126], -v[157:158]
	v_fma_f64 v[151:152], v[151:152], v[125:126], v[127:128]
	s_wait_loadcnt_dscnt 0x0
	v_mul_f64_e32 v[125:126], v[155:156], v[147:148]
	v_mul_f64_e32 v[127:128], v[153:154], v[147:148]
	s_delay_alu instid0(VALU_DEP_2) | instskip(NEXT) | instid1(VALU_DEP_2)
	v_fma_f64 v[125:126], v[153:154], v[145:146], -v[125:126]
	v_fma_f64 v[127:128], v[155:156], v[145:146], v[127:128]
	s_clause 0x1
	global_load_b128 v[145:148], v113, s[4:5] offset:5760
	global_load_b128 v[153:156], v113, s[4:5] offset:6336
	;; [unrolled: 17-line block ×4, first 2 shown]
	ds_load_b128 v[173:176], v113 offset:8064
	ds_load_b128 v[177:180], v113 offset:8640
	s_wait_loadcnt_dscnt 0x101
	v_mul_f64_e32 v[181:182], v[175:176], v[163:164]
	v_mul_f64_e32 v[163:164], v[173:174], v[163:164]
	s_delay_alu instid0(VALU_DEP_2) | instskip(NEXT) | instid1(VALU_DEP_2)
	v_fma_f64 v[173:174], v[173:174], v[161:162], -v[181:182]
	v_fma_f64 v[175:176], v[175:176], v[161:162], v[163:164]
	s_wait_loadcnt_dscnt 0x0
	v_mul_f64_e32 v[161:162], v[179:180], v[171:172]
	v_mul_f64_e32 v[163:164], v[177:178], v[171:172]
	s_delay_alu instid0(VALU_DEP_2) | instskip(NEXT) | instid1(VALU_DEP_2)
	v_fma_f64 v[161:162], v[177:178], v[169:170], -v[161:162]
	v_fma_f64 v[163:164], v[179:180], v[169:170], v[163:164]
	ds_store_b128 v113, v[129:132]
	ds_store_b128 v113, v[133:136] offset:576
	ds_store_b128 v113, v[108:111] offset:1152
	;; [unrolled: 1-line block ×15, first 2 shown]
.LBB0_9:
	s_wait_alu 0xfffe
	s_or_b32 exec_lo, exec_lo, s6
	global_wb scope:SCOPE_SE
	s_wait_dscnt 0x0
	s_barrier_signal -1
	s_barrier_wait -1
	global_inv scope:SCOPE_SE
	s_and_saveexec_b32 s4, vcc_lo
	s_cbranch_execz .LBB0_11
; %bb.10:
	ds_load_b128 v[80:83], v113
	ds_load_b128 v[84:87], v113 offset:576
	ds_load_b128 v[92:95], v113 offset:1152
	;; [unrolled: 1-line block ×15, first 2 shown]
.LBB0_11:
	s_wait_alu 0xfffe
	s_or_b32 exec_lo, exec_lo, s4
	global_wb scope:SCOPE_SE
	s_wait_dscnt 0x0
	s_barrier_signal -1
	s_barrier_wait -1
	global_inv scope:SCOPE_SE
	s_and_saveexec_b32 s10, vcc_lo
	s_cbranch_execz .LBB0_13
; %bb.12:
	v_add_f64_e64 v[66:67], v[94:95], -v[66:67]
	v_add_f64_e64 v[76:77], v[40:41], -v[76:77]
	;; [unrolled: 1-line block ×16, first 2 shown]
	s_mov_b32 s4, 0x667f3bcd
	s_mov_b32 s5, 0x3fe6a09e
	;; [unrolled: 1-line block ×3, first 2 shown]
	s_wait_alu 0xfffe
	s_mov_b32 s6, s4
	s_mov_b32 s14, 0xcf328d46
	;; [unrolled: 1-line block ×5, first 2 shown]
	s_wait_alu 0xfffe
	s_mov_b32 s20, s14
	v_add_f64_e64 v[106:107], v[66:67], -v[76:77]
	v_fma_f64 v[82:83], v[82:83], 2.0, -v[50:51]
	v_add_f64_e64 v[104:105], v[50:51], -v[56:57]
	v_fma_f64 v[40:41], v[40:41], 2.0, -v[76:77]
	v_add_f64_e32 v[108:109], v[78:79], v[64:65]
	v_fma_f64 v[92:93], v[92:93], 2.0, -v[64:65]
	v_add_f64_e64 v[117:118], v[62:63], -v[72:73]
	v_fma_f64 v[42:43], v[42:43], 2.0, -v[78:79]
	v_add_f64_e64 v[110:111], v[54:55], -v[68:69]
	v_fma_f64 v[68:69], v[100:101], 2.0, -v[68:69]
	v_add_f64_e32 v[119:120], v[74:75], v[60:61]
	v_fma_f64 v[76:77], v[88:89], 2.0, -v[60:61]
	v_add_f64_e32 v[121:122], v[70:71], v[52:53]
	;; [unrolled: 2-line block ×3, first 2 shown]
	v_fma_f64 v[58:59], v[98:99], 2.0, -v[58:59]
	v_fma_f64 v[88:89], v[94:95], 2.0, -v[66:67]
	;; [unrolled: 1-line block ×11, first 2 shown]
	v_fma_f64 v[80:81], v[106:107], s[4:5], v[104:105]
	v_fma_f64 v[64:65], v[64:65], 2.0, -v[108:109]
	v_add_f64_e64 v[40:41], v[92:93], -v[40:41]
	v_fma_f64 v[62:63], v[62:63], 2.0, -v[117:118]
	v_fma_f64 v[54:55], v[54:55], 2.0, -v[110:111]
	v_fma_f64 v[86:87], v[117:118], s[4:5], v[110:111]
	v_fma_f64 v[60:61], v[60:61], 2.0, -v[119:120]
	v_fma_f64 v[52:53], v[52:53], 2.0, -v[121:122]
	v_add_f64_e64 v[68:69], v[84:85], -v[68:69]
	v_fma_f64 v[48:49], v[48:49], 2.0, -v[123:124]
	v_add_f64_e64 v[58:59], v[82:83], -v[58:59]
	v_add_f64_e64 v[42:43], v[88:89], -v[42:43]
	;; [unrolled: 1-line block ×3, first 2 shown]
	v_fma_f64 v[90:91], v[119:120], s[4:5], v[121:122]
	v_fma_f64 v[94:95], v[108:109], s[4:5], v[123:124]
	v_add_f64_e64 v[70:71], v[72:73], -v[70:71]
	v_add_f64_e64 v[46:47], v[78:79], -v[46:47]
	;; [unrolled: 1-line block ×3, first 2 shown]
	v_fma_f64 v[96:97], v[66:67], s[6:7], v[50:51]
	v_fma_f64 v[80:81], v[108:109], s[6:7], v[80:81]
	;; [unrolled: 1-line block ×5, first 2 shown]
	v_fma_f64 v[84:85], v[84:85], 2.0, -v[68:69]
	v_fma_f64 v[102:103], v[64:65], s[6:7], v[48:49]
	v_fma_f64 v[82:83], v[82:83], 2.0, -v[58:59]
	v_fma_f64 v[88:89], v[88:89], 2.0, -v[42:43]
	;; [unrolled: 1-line block ×3, first 2 shown]
	v_fma_f64 v[90:91], v[117:118], s[4:5], v[90:91]
	v_fma_f64 v[94:95], v[106:107], s[4:5], v[94:95]
	v_add_f64_e64 v[106:107], v[58:59], -v[40:41]
	v_add_f64_e64 v[44:45], v[70:71], -v[44:45]
	v_add_f64_e32 v[108:109], v[46:47], v[68:69]
	v_add_f64_e32 v[117:118], v[56:57], v[42:43]
	v_fma_f64 v[42:43], v[74:75], 2.0, -v[56:57]
	v_fma_f64 v[40:41], v[92:93], 2.0, -v[40:41]
	;; [unrolled: 1-line block ×4, first 2 shown]
	v_fma_f64 v[92:93], v[64:65], s[6:7], v[96:97]
	v_fma_f64 v[60:61], v[60:61], s[6:7], v[98:99]
	v_fma_f64 v[98:99], v[104:105], 2.0, -v[80:81]
	v_fma_f64 v[62:63], v[62:63], s[4:5], v[100:101]
	v_fma_f64 v[96:97], v[66:67], s[4:5], v[102:103]
	v_fma_f64 v[66:67], v[110:111], 2.0, -v[86:87]
	v_add_f64_e64 v[88:89], v[82:83], -v[88:89]
	v_add_f64_e64 v[64:65], v[84:85], -v[76:77]
	v_fma_f64 v[74:75], v[121:122], 2.0, -v[90:91]
	v_fma_f64 v[104:105], v[123:124], 2.0, -v[94:95]
	;; [unrolled: 1-line block ×6, first 2 shown]
	v_add_f64_e64 v[110:111], v[42:43], -v[40:41]
	v_fma_f64 v[40:41], v[86:87], s[14:15], v[80:81]
	v_add_f64_e64 v[56:57], v[72:73], -v[46:47]
	v_fma_f64 v[46:47], v[44:45], s[4:5], v[106:107]
	v_fma_f64 v[119:120], v[50:51], 2.0, -v[92:93]
	v_fma_f64 v[50:51], v[90:91], s[14:15], v[94:95]
	v_fma_f64 v[68:69], v[54:55], 2.0, -v[60:61]
	;; [unrolled: 2-line block ×3, first 2 shown]
	v_fma_f64 v[121:122], v[48:49], 2.0, -v[96:97]
	v_fma_f64 v[48:49], v[108:109], s[4:5], v[117:118]
	v_fma_f64 v[52:53], v[66:67], s[16:17], v[98:99]
	;; [unrolled: 1-line block ×3, first 2 shown]
	v_fma_f64 v[131:132], v[82:83], 2.0, -v[88:89]
	v_fma_f64 v[129:130], v[74:75], s[16:17], v[104:105]
	v_fma_f64 v[82:83], v[84:85], 2.0, -v[64:65]
	v_fma_f64 v[125:126], v[70:71], s[6:7], v[100:101]
	v_fma_f64 v[127:128], v[58:59], s[6:7], v[102:103]
	v_fma_f64 v[133:134], v[42:43], 2.0, -v[110:111]
	v_fma_f64 v[42:43], v[90:91], s[16:17], v[40:41]
	v_fma_f64 v[72:73], v[72:73], 2.0, -v[56:57]
	v_fma_f64 v[46:47], v[108:109], s[6:7], v[46:47]
	v_fma_f64 v[40:41], v[86:87], s[18:19], v[50:51]
	v_add_f64_e64 v[50:51], v[88:89], -v[64:65]
	v_fma_f64 v[84:85], v[68:69], s[20:21], v[119:120]
	v_fma_f64 v[62:63], v[62:63], s[20:21], v[78:79]
	;; [unrolled: 1-line block ×4, first 2 shown]
	v_add_f64_e32 v[48:49], v[110:111], v[56:57]
	v_fma_f64 v[54:55], v[74:75], s[20:21], v[52:53]
	v_fma_f64 v[60:61], v[60:61], s[14:15], v[123:124]
	;; [unrolled: 1-line block ×5, first 2 shown]
	v_add_f64_e64 v[64:65], v[133:134], -v[82:83]
	v_fma_f64 v[74:75], v[80:81], 2.0, -v[42:43]
	v_add_f64_e64 v[66:67], v[131:132], -v[72:73]
	v_fma_f64 v[78:79], v[106:107], 2.0, -v[46:47]
	v_fma_f64 v[72:73], v[94:95], 2.0, -v[40:41]
	;; [unrolled: 1-line block ×3, first 2 shown]
	v_fma_f64 v[70:71], v[76:77], s[16:17], v[84:85]
	v_fma_f64 v[94:95], v[92:93], 2.0, -v[62:63]
	v_fma_f64 v[68:69], v[68:69], s[18:19], v[135:136]
	v_fma_f64 v[76:77], v[117:118], 2.0, -v[44:45]
	v_fma_f64 v[80:81], v[110:111], 2.0, -v[48:49]
	;; [unrolled: 1-line block ×5, first 2 shown]
	v_and_b32_e32 v104, 0xffff, v115
	v_fma_f64 v[90:91], v[100:101], 2.0, -v[58:59]
	v_fma_f64 v[88:89], v[102:103], 2.0, -v[56:57]
	;; [unrolled: 1-line block ×3, first 2 shown]
	s_delay_alu instid0(VALU_DEP_4)
	v_lshlrev_b32_e32 v104, 4, v104
	v_fma_f64 v[98:99], v[131:132], 2.0, -v[66:67]
	v_fma_f64 v[102:103], v[119:120], 2.0, -v[70:71]
	v_fma_f64 v[100:101], v[121:122], 2.0, -v[68:69]
	ds_store_b128 v104, v[76:79] offset:96
	ds_store_b128 v104, v[72:75] offset:112
	;; [unrolled: 1-line block ×12, first 2 shown]
	ds_store_b128 v104, v[96:99]
	ds_store_b128 v104, v[100:103] offset:16
	ds_store_b128 v104, v[44:47] offset:224
	;; [unrolled: 1-line block ×3, first 2 shown]
.LBB0_13:
	s_wait_alu 0xfffe
	s_or_b32 exec_lo, exec_lo, s10
	global_wb scope:SCOPE_SE
	s_wait_dscnt 0x0
	s_barrier_signal -1
	s_barrier_wait -1
	global_inv scope:SCOPE_SE
	ds_load_b128 v[40:43], v113 offset:4608
	ds_load_b128 v[44:47], v113 offset:7680
	;; [unrolled: 1-line block ×3, first 2 shown]
	s_mov_b32 s6, 0xe8584caa
	s_mov_b32 s7, 0xbfebb67a
	;; [unrolled: 1-line block ×3, first 2 shown]
	s_wait_alu 0xfffe
	s_mov_b32 s4, s6
	s_wait_dscnt 0x2
	v_mul_f64_e32 v[52:53], v[2:3], v[40:41]
	s_wait_dscnt 0x1
	v_mul_f64_e32 v[54:55], v[18:19], v[44:45]
	;; [unrolled: 2-line block ×3, first 2 shown]
	v_mul_f64_e32 v[2:3], v[2:3], v[42:43]
	v_mul_f64_e32 v[18:19], v[18:19], v[46:47]
	;; [unrolled: 1-line block ×3, first 2 shown]
	v_fma_f64 v[42:43], v[0:1], v[42:43], -v[52:53]
	v_fma_f64 v[46:47], v[16:17], v[46:47], -v[54:55]
	ds_load_b128 v[52:55], v113 offset:3072
	ds_load_b128 v[56:59], v113 offset:6144
	v_fma_f64 v[40:41], v[0:1], v[40:41], v[2:3]
	v_fma_f64 v[16:17], v[16:17], v[44:45], v[18:19]
	v_fma_f64 v[18:19], v[4:5], v[50:51], -v[60:61]
	v_fma_f64 v[4:5], v[4:5], v[48:49], v[6:7]
	s_wait_dscnt 0x1
	v_mul_f64_e32 v[62:63], v[14:15], v[54:55]
	v_mul_f64_e32 v[14:15], v[14:15], v[52:53]
	s_wait_dscnt 0x0
	v_mul_f64_e32 v[64:65], v[10:11], v[58:59]
	v_mul_f64_e32 v[10:11], v[10:11], v[56:57]
	v_add_f64_e32 v[0:1], v[42:43], v[46:47]
	v_add_f64_e64 v[50:51], v[42:43], -v[46:47]
	v_add_f64_e32 v[2:3], v[40:41], v[16:17]
	v_add_f64_e64 v[6:7], v[40:41], -v[16:17]
	v_fma_f64 v[44:45], v[12:13], v[52:53], v[62:63]
	v_fma_f64 v[12:13], v[12:13], v[54:55], -v[14:15]
	v_fma_f64 v[14:15], v[8:9], v[56:57], v[64:65]
	v_fma_f64 v[8:9], v[8:9], v[58:59], -v[10:11]
	v_fma_f64 v[0:1], v[0:1], -0.5, v[18:19]
	v_add_f64_e32 v[18:19], v[18:19], v[42:43]
	v_fma_f64 v[52:53], v[2:3], -0.5, v[4:5]
	v_add_f64_e32 v[4:5], v[4:5], v[40:41]
	v_add_f64_e32 v[10:11], v[44:45], v[14:15]
	;; [unrolled: 1-line block ×3, first 2 shown]
	v_add_f64_e64 v[58:59], v[12:13], -v[8:9]
	s_wait_alu 0xfffe
	v_fma_f64 v[54:55], v[6:7], s[4:5], v[0:1]
	v_fma_f64 v[6:7], v[6:7], s[6:7], v[0:1]
	ds_load_b128 v[0:3], v113
	v_fma_f64 v[40:41], v[50:51], s[4:5], v[52:53]
	v_add_f64_e32 v[4:5], v[4:5], v[16:17]
	global_wb scope:SCOPE_SE
	s_wait_dscnt 0x0
	s_barrier_signal -1
	s_barrier_wait -1
	global_inv scope:SCOPE_SE
	v_add_f64_e32 v[56:57], v[0:1], v[44:45]
	v_add_f64_e32 v[12:13], v[2:3], v[12:13]
	v_add_f64_e64 v[44:45], v[44:45], -v[14:15]
	v_fma_f64 v[0:1], v[10:11], -0.5, v[0:1]
	v_fma_f64 v[2:3], v[48:49], -0.5, v[2:3]
	v_fma_f64 v[10:11], v[50:51], s[6:7], v[52:53]
	v_mul_f64_e32 v[42:43], s[6:7], v[54:55]
	v_mul_f64_e32 v[50:51], 0.5, v[54:55]
	v_mul_f64_e32 v[48:49], s[6:7], v[6:7]
	v_mul_f64_e32 v[6:7], -0.5, v[6:7]
	v_add_f64_e32 v[14:15], v[56:57], v[14:15]
	v_add_f64_e32 v[8:9], v[12:13], v[8:9]
	;; [unrolled: 1-line block ×3, first 2 shown]
	v_fma_f64 v[16:17], v[58:59], s[6:7], v[0:1]
	v_fma_f64 v[46:47], v[44:45], s[4:5], v[2:3]
	;; [unrolled: 1-line block ×4, first 2 shown]
	v_fma_f64 v[42:43], v[10:11], 0.5, v[42:43]
	v_fma_f64 v[50:51], v[10:11], s[4:5], v[50:51]
	v_fma_f64 v[48:49], v[40:41], -0.5, v[48:49]
	v_fma_f64 v[52:53], v[40:41], s[4:5], v[6:7]
	v_add_f64_e32 v[0:1], v[14:15], v[4:5]
	v_add_f64_e64 v[4:5], v[14:15], -v[4:5]
	v_add_f64_e32 v[2:3], v[8:9], v[12:13]
	v_add_f64_e64 v[6:7], v[8:9], -v[12:13]
	v_add_f64_e32 v[8:9], v[16:17], v[42:43]
	v_add_f64_e32 v[10:11], v[46:47], v[50:51]
	v_add_f64_e32 v[12:13], v[18:19], v[48:49]
	v_add_f64_e32 v[14:15], v[44:45], v[52:53]
	v_add_f64_e64 v[16:17], v[16:17], -v[42:43]
	v_add_f64_e64 v[40:41], v[18:19], -v[48:49]
	;; [unrolled: 1-line block ×4, first 2 shown]
	ds_store_b128 v116, v[0:3]
	ds_store_b128 v116, v[8:11] offset:256
	ds_store_b128 v116, v[12:15] offset:512
	ds_store_b128 v116, v[4:7] offset:768
	ds_store_b128 v116, v[16:19] offset:1024
	ds_store_b128 v116, v[40:43] offset:1280
	global_wb scope:SCOPE_SE
	s_wait_dscnt 0x0
	s_barrier_signal -1
	s_barrier_wait -1
	global_inv scope:SCOPE_SE
	ds_load_b128 v[0:3], v113 offset:4608
	ds_load_b128 v[4:7], v113 offset:7680
	;; [unrolled: 1-line block ×3, first 2 shown]
	s_wait_dscnt 0x2
	v_mul_f64_e32 v[12:13], v[22:23], v[0:1]
	s_wait_dscnt 0x1
	v_mul_f64_e32 v[14:15], v[38:39], v[4:5]
	;; [unrolled: 2-line block ×3, first 2 shown]
	v_mul_f64_e32 v[22:23], v[22:23], v[2:3]
	v_mul_f64_e32 v[38:39], v[38:39], v[6:7]
	v_fma_f64 v[42:43], v[20:21], v[2:3], -v[12:13]
	v_fma_f64 v[6:7], v[36:37], v[6:7], -v[14:15]
	ds_load_b128 v[12:15], v113 offset:3072
	ds_load_b128 v[16:19], v113 offset:6144
	v_mul_f64_e32 v[2:3], v[26:27], v[10:11]
	v_fma_f64 v[20:21], v[20:21], v[0:1], v[22:23]
	v_fma_f64 v[4:5], v[36:37], v[4:5], v[38:39]
	v_fma_f64 v[10:11], v[24:25], v[10:11], -v[40:41]
	s_wait_dscnt 0x1
	v_mul_f64_e32 v[26:27], v[34:35], v[14:15]
	v_mul_f64_e32 v[34:35], v[34:35], v[12:13]
	s_wait_dscnt 0x0
	v_mul_f64_e32 v[44:45], v[30:31], v[18:19]
	v_mul_f64_e32 v[30:31], v[30:31], v[16:17]
	v_add_f64_e32 v[0:1], v[42:43], v[6:7]
	v_fma_f64 v[8:9], v[24:25], v[8:9], v[2:3]
	v_add_f64_e32 v[2:3], v[20:21], v[4:5]
	v_add_f64_e64 v[22:23], v[20:21], -v[4:5]
	v_fma_f64 v[12:13], v[32:33], v[12:13], v[26:27]
	v_fma_f64 v[14:15], v[32:33], v[14:15], -v[34:35]
	v_fma_f64 v[16:17], v[28:29], v[16:17], v[44:45]
	v_fma_f64 v[18:19], v[28:29], v[18:19], -v[30:31]
	v_add_f64_e64 v[28:29], v[42:43], -v[6:7]
	v_fma_f64 v[0:1], v[0:1], -0.5, v[10:11]
	v_add_f64_e32 v[10:11], v[10:11], v[42:43]
	v_fma_f64 v[30:31], v[2:3], -0.5, v[8:9]
	v_add_f64_e32 v[8:9], v[8:9], v[20:21]
	v_add_f64_e32 v[24:25], v[12:13], v[16:17]
	;; [unrolled: 1-line block ×3, first 2 shown]
	v_add_f64_e64 v[36:37], v[14:15], -v[18:19]
	v_fma_f64 v[32:33], v[22:23], s[4:5], v[0:1]
	v_fma_f64 v[22:23], v[22:23], s[6:7], v[0:1]
	ds_load_b128 v[0:3], v113
	v_add_f64_e32 v[6:7], v[10:11], v[6:7]
	v_fma_f64 v[20:21], v[28:29], s[6:7], v[30:31]
	v_add_f64_e32 v[4:5], v[8:9], v[4:5]
	s_wait_dscnt 0x0
	v_add_f64_e32 v[34:35], v[0:1], v[12:13]
	v_add_f64_e32 v[14:15], v[2:3], v[14:15]
	v_add_f64_e64 v[12:13], v[12:13], -v[16:17]
	v_fma_f64 v[0:1], v[24:25], -0.5, v[0:1]
	v_fma_f64 v[2:3], v[26:27], -0.5, v[2:3]
	v_fma_f64 v[24:25], v[28:29], s[4:5], v[30:31]
	v_mul_f64_e32 v[26:27], s[6:7], v[32:33]
	v_mul_f64_e32 v[30:31], 0.5, v[32:33]
	v_mul_f64_e32 v[28:29], s[6:7], v[22:23]
	v_mul_f64_e32 v[22:23], -0.5, v[22:23]
	v_add_f64_e32 v[16:17], v[34:35], v[16:17]
	v_add_f64_e32 v[14:15], v[14:15], v[18:19]
	v_fma_f64 v[18:19], v[36:37], s[6:7], v[0:1]
	v_fma_f64 v[34:35], v[12:13], s[4:5], v[2:3]
	;; [unrolled: 1-line block ×4, first 2 shown]
	v_fma_f64 v[26:27], v[20:21], 0.5, v[26:27]
	v_fma_f64 v[30:31], v[20:21], s[4:5], v[30:31]
	v_fma_f64 v[28:29], v[24:25], -0.5, v[28:29]
	v_fma_f64 v[22:23], v[24:25], s[4:5], v[22:23]
	v_add_f64_e32 v[0:1], v[16:17], v[4:5]
	v_add_f64_e32 v[2:3], v[14:15], v[6:7]
	v_add_f64_e64 v[6:7], v[14:15], -v[6:7]
	v_add_f64_e64 v[4:5], v[16:17], -v[4:5]
	v_add_f64_e32 v[8:9], v[18:19], v[26:27]
	v_add_f64_e32 v[10:11], v[34:35], v[30:31]
	;; [unrolled: 1-line block ×4, first 2 shown]
	v_add_f64_e64 v[16:17], v[18:19], -v[26:27]
	v_add_f64_e64 v[18:19], v[34:35], -v[30:31]
	;; [unrolled: 1-line block ×4, first 2 shown]
	ds_store_b128 v113, v[0:3]
	ds_store_b128 v113, v[8:11] offset:1536
	ds_store_b128 v113, v[12:15] offset:3072
	;; [unrolled: 1-line block ×5, first 2 shown]
	global_wb scope:SCOPE_SE
	s_wait_dscnt 0x0
	s_barrier_signal -1
	s_barrier_wait -1
	global_inv scope:SCOPE_SE
	s_and_b32 exec_lo, exec_lo, vcc_lo
	s_cbranch_execz .LBB0_15
; %bb.14:
	s_clause 0xb
	global_load_b128 v[0:3], v113, s[8:9]
	global_load_b128 v[4:7], v113, s[8:9] offset:576
	global_load_b128 v[8:11], v113, s[8:9] offset:1152
	;; [unrolled: 1-line block ×11, first 2 shown]
	v_mad_co_u64_u32 v[80:81], null, s2, v112, 0
	v_mad_co_u64_u32 v[96:97], null, s0, v114, 0
	s_delay_alu instid0(VALU_DEP_2) | instskip(NEXT) | instid1(VALU_DEP_2)
	v_mov_b32_e32 v48, v81
	v_mov_b32_e32 v56, v97
	s_delay_alu instid0(VALU_DEP_2)
	v_mad_co_u64_u32 v[64:65], null, s3, v112, v[48:49]
	ds_load_b128 v[48:51], v113
	ds_load_b128 v[52:55], v113 offset:576
	v_mad_co_u64_u32 v[82:83], null, s1, v114, v[56:57]
	ds_load_b128 v[56:59], v113 offset:1152
	ds_load_b128 v[60:63], v113 offset:1728
	s_mul_u64 s[0:1], s[0:1], 0x240
	s_mov_b32 s2, 0x1c71c71c
	v_mov_b32_e32 v81, v64
	ds_load_b128 v[64:67], v113 offset:2304
	ds_load_b128 v[68:71], v113 offset:2880
	;; [unrolled: 1-line block ×4, first 2 shown]
	s_mov_b32 s3, 0x3f5c71c7
	v_mov_b32_e32 v97, v82
	v_lshlrev_b64_e32 v[98:99], 4, v[80:81]
	ds_load_b128 v[80:83], v113 offset:4608
	ds_load_b128 v[84:87], v113 offset:5184
	;; [unrolled: 1-line block ×4, first 2 shown]
	v_lshlrev_b64_e32 v[96:97], 4, v[96:97]
	v_add_co_u32 v112, vcc_lo, s12, v98
	v_add_co_ci_u32_e32 v124, vcc_lo, s13, v99, vcc_lo
	s_delay_alu instid0(VALU_DEP_2) | instskip(SKIP_1) | instid1(VALU_DEP_2)
	v_add_co_u32 v96, vcc_lo, v112, v96
	s_wait_alu 0xfffd
	v_add_co_ci_u32_e32 v97, vcc_lo, v124, v97, vcc_lo
	s_wait_alu 0xfffe
	s_delay_alu instid0(VALU_DEP_2) | instskip(SKIP_1) | instid1(VALU_DEP_2)
	v_add_co_u32 v124, vcc_lo, v96, s0
	s_wait_alu 0xfffd
	v_add_co_ci_u32_e32 v125, vcc_lo, s1, v97, vcc_lo
	s_delay_alu instid0(VALU_DEP_2) | instskip(SKIP_1) | instid1(VALU_DEP_2)
	v_add_co_u32 v126, vcc_lo, v124, s0
	s_wait_alu 0xfffd
	v_add_co_ci_u32_e32 v127, vcc_lo, s1, v125, vcc_lo
	s_wait_loadcnt_dscnt 0xb0b
	v_mul_f64_e32 v[98:99], v[50:51], v[2:3]
	v_mul_f64_e32 v[2:3], v[48:49], v[2:3]
	s_wait_loadcnt_dscnt 0xa0a
	v_mul_f64_e32 v[100:101], v[54:55], v[6:7]
	v_mul_f64_e32 v[6:7], v[52:53], v[6:7]
	;; [unrolled: 3-line block ×12, first 2 shown]
	v_fma_f64 v[48:49], v[48:49], v[0:1], v[98:99]
	v_fma_f64 v[2:3], v[0:1], v[50:51], -v[2:3]
	v_fma_f64 v[50:51], v[52:53], v[4:5], v[100:101]
	v_fma_f64 v[6:7], v[4:5], v[54:55], -v[6:7]
	;; [unrolled: 2-line block ×12, first 2 shown]
	v_add_co_u32 v72, vcc_lo, v126, s0
	s_wait_alu 0xfffd
	v_add_co_ci_u32_e32 v73, vcc_lo, s1, v127, vcc_lo
	s_delay_alu instid0(VALU_DEP_2) | instskip(SKIP_1) | instid1(VALU_DEP_2)
	v_add_co_u32 v74, vcc_lo, v72, s0
	s_wait_alu 0xfffd
	v_add_co_ci_u32_e32 v75, vcc_lo, s1, v73, vcc_lo
	s_delay_alu instid0(VALU_DEP_2) | instskip(SKIP_1) | instid1(VALU_DEP_2)
	v_add_co_u32 v76, vcc_lo, v74, s0
	s_wait_alu 0xfffd
	v_add_co_ci_u32_e32 v77, vcc_lo, s1, v75, vcc_lo
	v_mul_f64_e32 v[0:1], s[2:3], v[48:49]
	v_mul_f64_e32 v[2:3], s[2:3], v[2:3]
	;; [unrolled: 1-line block ×24, first 2 shown]
	v_add_co_u32 v48, vcc_lo, v76, s0
	s_wait_alu 0xfffd
	v_add_co_ci_u32_e32 v49, vcc_lo, s1, v77, vcc_lo
	s_delay_alu instid0(VALU_DEP_2) | instskip(SKIP_1) | instid1(VALU_DEP_2)
	v_add_co_u32 v50, vcc_lo, v48, s0
	s_wait_alu 0xfffd
	v_add_co_ci_u32_e32 v51, vcc_lo, s1, v49, vcc_lo
	s_delay_alu instid0(VALU_DEP_2) | instskip(SKIP_1) | instid1(VALU_DEP_2)
	v_add_co_u32 v52, vcc_lo, v50, s0
	s_wait_alu 0xfffd
	v_add_co_ci_u32_e32 v53, vcc_lo, s1, v51, vcc_lo
	s_delay_alu instid0(VALU_DEP_2) | instskip(SKIP_1) | instid1(VALU_DEP_2)
	v_add_co_u32 v54, vcc_lo, v52, s0
	s_wait_alu 0xfffd
	v_add_co_ci_u32_e32 v55, vcc_lo, s1, v53, vcc_lo
	s_delay_alu instid0(VALU_DEP_2) | instskip(SKIP_1) | instid1(VALU_DEP_2)
	v_add_co_u32 v56, vcc_lo, v54, s0
	s_wait_alu 0xfffd
	v_add_co_ci_u32_e32 v57, vcc_lo, s1, v55, vcc_lo
	s_delay_alu instid0(VALU_DEP_2) | instskip(SKIP_1) | instid1(VALU_DEP_2)
	v_add_co_u32 v58, vcc_lo, v56, s0
	s_wait_alu 0xfffd
	v_add_co_ci_u32_e32 v59, vcc_lo, s1, v57, vcc_lo
	s_clause 0x4
	global_store_b128 v[96:97], v[0:3], off
	global_store_b128 v[124:125], v[4:7], off
	;; [unrolled: 1-line block ×12, first 2 shown]
	global_load_b128 v[0:3], v113, s[8:9] offset:6912
	ds_load_b128 v[4:7], v113 offset:6912
	ds_load_b128 v[8:11], v113 offset:7488
	s_wait_loadcnt_dscnt 0x1
	v_mul_f64_e32 v[12:13], v[6:7], v[2:3]
	v_mul_f64_e32 v[2:3], v[4:5], v[2:3]
	s_delay_alu instid0(VALU_DEP_2) | instskip(NEXT) | instid1(VALU_DEP_2)
	v_fma_f64 v[4:5], v[4:5], v[0:1], v[12:13]
	v_fma_f64 v[2:3], v[0:1], v[6:7], -v[2:3]
	s_delay_alu instid0(VALU_DEP_2) | instskip(NEXT) | instid1(VALU_DEP_2)
	v_mul_f64_e32 v[0:1], s[2:3], v[4:5]
	v_mul_f64_e32 v[2:3], s[2:3], v[2:3]
	v_add_co_u32 v4, vcc_lo, v58, s0
	s_wait_alu 0xfffd
	v_add_co_ci_u32_e32 v5, vcc_lo, s1, v59, vcc_lo
	s_delay_alu instid0(VALU_DEP_2) | instskip(SKIP_1) | instid1(VALU_DEP_2)
	v_add_co_u32 v12, vcc_lo, v4, s0
	s_wait_alu 0xfffd
	v_add_co_ci_u32_e32 v13, vcc_lo, s1, v5, vcc_lo
	global_store_b128 v[4:5], v[0:3], off
	global_load_b128 v[0:3], v113, s[8:9] offset:7488
	s_wait_loadcnt_dscnt 0x0
	v_mul_f64_e32 v[6:7], v[10:11], v[2:3]
	v_mul_f64_e32 v[2:3], v[8:9], v[2:3]
	s_delay_alu instid0(VALU_DEP_2) | instskip(NEXT) | instid1(VALU_DEP_2)
	v_fma_f64 v[6:7], v[8:9], v[0:1], v[6:7]
	v_fma_f64 v[2:3], v[0:1], v[10:11], -v[2:3]
	s_delay_alu instid0(VALU_DEP_2) | instskip(NEXT) | instid1(VALU_DEP_2)
	v_mul_f64_e32 v[0:1], s[2:3], v[6:7]
	v_mul_f64_e32 v[2:3], s[2:3], v[2:3]
	global_store_b128 v[12:13], v[0:3], off
	global_load_b128 v[0:3], v113, s[8:9] offset:8064
	ds_load_b128 v[4:7], v113 offset:8064
	ds_load_b128 v[8:11], v113 offset:8640
	s_wait_loadcnt_dscnt 0x1
	v_mul_f64_e32 v[14:15], v[6:7], v[2:3]
	v_mul_f64_e32 v[2:3], v[4:5], v[2:3]
	s_delay_alu instid0(VALU_DEP_2) | instskip(NEXT) | instid1(VALU_DEP_2)
	v_fma_f64 v[4:5], v[4:5], v[0:1], v[14:15]
	v_fma_f64 v[2:3], v[0:1], v[6:7], -v[2:3]
	s_delay_alu instid0(VALU_DEP_2) | instskip(NEXT) | instid1(VALU_DEP_2)
	v_mul_f64_e32 v[0:1], s[2:3], v[4:5]
	v_mul_f64_e32 v[2:3], s[2:3], v[2:3]
	v_add_co_u32 v4, vcc_lo, v12, s0
	s_wait_alu 0xfffd
	v_add_co_ci_u32_e32 v5, vcc_lo, s1, v13, vcc_lo
	global_store_b128 v[4:5], v[0:3], off
	global_load_b128 v[0:3], v113, s[8:9] offset:8640
	v_add_co_u32 v4, vcc_lo, v4, s0
	s_wait_alu 0xfffd
	v_add_co_ci_u32_e32 v5, vcc_lo, s1, v5, vcc_lo
	s_wait_loadcnt_dscnt 0x0
	v_mul_f64_e32 v[6:7], v[10:11], v[2:3]
	v_mul_f64_e32 v[2:3], v[8:9], v[2:3]
	s_delay_alu instid0(VALU_DEP_2) | instskip(NEXT) | instid1(VALU_DEP_2)
	v_fma_f64 v[6:7], v[8:9], v[0:1], v[6:7]
	v_fma_f64 v[2:3], v[0:1], v[10:11], -v[2:3]
	s_delay_alu instid0(VALU_DEP_2) | instskip(NEXT) | instid1(VALU_DEP_2)
	v_mul_f64_e32 v[0:1], s[2:3], v[6:7]
	v_mul_f64_e32 v[2:3], s[2:3], v[2:3]
	global_store_b128 v[4:5], v[0:3], off
.LBB0_15:
	s_nop 0
	s_sendmsg sendmsg(MSG_DEALLOC_VGPRS)
	s_endpgm
	.section	.rodata,"a",@progbits
	.p2align	6, 0x0
	.amdhsa_kernel bluestein_single_fwd_len576_dim1_dp_op_CI_CI
		.amdhsa_group_segment_fixed_size 9216
		.amdhsa_private_segment_fixed_size 0
		.amdhsa_kernarg_size 104
		.amdhsa_user_sgpr_count 2
		.amdhsa_user_sgpr_dispatch_ptr 0
		.amdhsa_user_sgpr_queue_ptr 0
		.amdhsa_user_sgpr_kernarg_segment_ptr 1
		.amdhsa_user_sgpr_dispatch_id 0
		.amdhsa_user_sgpr_private_segment_size 0
		.amdhsa_wavefront_size32 1
		.amdhsa_uses_dynamic_stack 0
		.amdhsa_enable_private_segment 0
		.amdhsa_system_sgpr_workgroup_id_x 1
		.amdhsa_system_sgpr_workgroup_id_y 0
		.amdhsa_system_sgpr_workgroup_id_z 0
		.amdhsa_system_sgpr_workgroup_info 0
		.amdhsa_system_vgpr_workitem_id 0
		.amdhsa_next_free_vgpr 183
		.amdhsa_next_free_sgpr 22
		.amdhsa_reserve_vcc 1
		.amdhsa_float_round_mode_32 0
		.amdhsa_float_round_mode_16_64 0
		.amdhsa_float_denorm_mode_32 3
		.amdhsa_float_denorm_mode_16_64 3
		.amdhsa_fp16_overflow 0
		.amdhsa_workgroup_processor_mode 1
		.amdhsa_memory_ordered 1
		.amdhsa_forward_progress 0
		.amdhsa_round_robin_scheduling 0
		.amdhsa_exception_fp_ieee_invalid_op 0
		.amdhsa_exception_fp_denorm_src 0
		.amdhsa_exception_fp_ieee_div_zero 0
		.amdhsa_exception_fp_ieee_overflow 0
		.amdhsa_exception_fp_ieee_underflow 0
		.amdhsa_exception_fp_ieee_inexact 0
		.amdhsa_exception_int_div_zero 0
	.end_amdhsa_kernel
	.text
.Lfunc_end0:
	.size	bluestein_single_fwd_len576_dim1_dp_op_CI_CI, .Lfunc_end0-bluestein_single_fwd_len576_dim1_dp_op_CI_CI
                                        ; -- End function
	.section	.AMDGPU.csdata,"",@progbits
; Kernel info:
; codeLenInByte = 10076
; NumSgprs: 24
; NumVgprs: 183
; ScratchSize: 0
; MemoryBound: 0
; FloatMode: 240
; IeeeMode: 1
; LDSByteSize: 9216 bytes/workgroup (compile time only)
; SGPRBlocks: 2
; VGPRBlocks: 22
; NumSGPRsForWavesPerEU: 24
; NumVGPRsForWavesPerEU: 183
; Occupancy: 8
; WaveLimiterHint : 1
; COMPUTE_PGM_RSRC2:SCRATCH_EN: 0
; COMPUTE_PGM_RSRC2:USER_SGPR: 2
; COMPUTE_PGM_RSRC2:TRAP_HANDLER: 0
; COMPUTE_PGM_RSRC2:TGID_X_EN: 1
; COMPUTE_PGM_RSRC2:TGID_Y_EN: 0
; COMPUTE_PGM_RSRC2:TGID_Z_EN: 0
; COMPUTE_PGM_RSRC2:TIDIG_COMP_CNT: 0
	.text
	.p2alignl 7, 3214868480
	.fill 96, 4, 3214868480
	.type	__hip_cuid_ad6ec786d0751209,@object ; @__hip_cuid_ad6ec786d0751209
	.section	.bss,"aw",@nobits
	.globl	__hip_cuid_ad6ec786d0751209
__hip_cuid_ad6ec786d0751209:
	.byte	0                               ; 0x0
	.size	__hip_cuid_ad6ec786d0751209, 1

	.ident	"AMD clang version 19.0.0git (https://github.com/RadeonOpenCompute/llvm-project roc-6.4.0 25133 c7fe45cf4b819c5991fe208aaa96edf142730f1d)"
	.section	".note.GNU-stack","",@progbits
	.addrsig
	.addrsig_sym __hip_cuid_ad6ec786d0751209
	.amdgpu_metadata
---
amdhsa.kernels:
  - .args:
      - .actual_access:  read_only
        .address_space:  global
        .offset:         0
        .size:           8
        .value_kind:     global_buffer
      - .actual_access:  read_only
        .address_space:  global
        .offset:         8
        .size:           8
        .value_kind:     global_buffer
      - .actual_access:  read_only
        .address_space:  global
        .offset:         16
        .size:           8
        .value_kind:     global_buffer
      - .actual_access:  read_only
        .address_space:  global
        .offset:         24
        .size:           8
        .value_kind:     global_buffer
      - .actual_access:  read_only
        .address_space:  global
        .offset:         32
        .size:           8
        .value_kind:     global_buffer
      - .offset:         40
        .size:           8
        .value_kind:     by_value
      - .address_space:  global
        .offset:         48
        .size:           8
        .value_kind:     global_buffer
      - .address_space:  global
        .offset:         56
        .size:           8
        .value_kind:     global_buffer
      - .address_space:  global
        .offset:         64
        .size:           8
        .value_kind:     global_buffer
      - .address_space:  global
        .offset:         72
        .size:           8
        .value_kind:     global_buffer
      - .offset:         80
        .size:           4
        .value_kind:     by_value
      - .address_space:  global
        .offset:         88
        .size:           8
        .value_kind:     global_buffer
      - .address_space:  global
        .offset:         96
        .size:           8
        .value_kind:     global_buffer
    .group_segment_fixed_size: 9216
    .kernarg_segment_align: 8
    .kernarg_segment_size: 104
    .language:       OpenCL C
    .language_version:
      - 2
      - 0
    .max_flat_workgroup_size: 96
    .name:           bluestein_single_fwd_len576_dim1_dp_op_CI_CI
    .private_segment_fixed_size: 0
    .sgpr_count:     24
    .sgpr_spill_count: 0
    .symbol:         bluestein_single_fwd_len576_dim1_dp_op_CI_CI.kd
    .uniform_work_group_size: 1
    .uses_dynamic_stack: false
    .vgpr_count:     183
    .vgpr_spill_count: 0
    .wavefront_size: 32
    .workgroup_processor_mode: 1
amdhsa.target:   amdgcn-amd-amdhsa--gfx1201
amdhsa.version:
  - 1
  - 2
...

	.end_amdgpu_metadata
